;; amdgpu-corpus repo=ROCm/rocFFT kind=compiled arch=gfx906 opt=O3
	.text
	.amdgcn_target "amdgcn-amd-amdhsa--gfx906"
	.amdhsa_code_object_version 6
	.protected	bluestein_single_fwd_len1250_dim1_dp_op_CI_CI ; -- Begin function bluestein_single_fwd_len1250_dim1_dp_op_CI_CI
	.globl	bluestein_single_fwd_len1250_dim1_dp_op_CI_CI
	.p2align	8
	.type	bluestein_single_fwd_len1250_dim1_dp_op_CI_CI,@function
bluestein_single_fwd_len1250_dim1_dp_op_CI_CI: ; @bluestein_single_fwd_len1250_dim1_dp_op_CI_CI
; %bb.0:
	s_load_dwordx4 s[16:19], s[4:5], 0x28
	v_mul_u32_u24_e32 v1, 0x107, v0
	v_add_u32_sdwa v128, s6, v1 dst_sel:DWORD dst_unused:UNUSED_PAD src0_sel:DWORD src1_sel:WORD_1
	v_mov_b32_e32 v129, 0
	s_waitcnt lgkmcnt(0)
	v_cmp_gt_u64_e32 vcc, s[16:17], v[128:129]
	s_and_saveexec_b64 s[0:1], vcc
	s_cbranch_execz .LBB0_10
; %bb.1:
	s_load_dwordx4 s[0:3], s[4:5], 0x18
	s_load_dwordx4 s[8:11], s[4:5], 0x0
	s_load_dwordx2 s[16:17], s[4:5], 0x38
	s_mov_b32 s4, 0x134454ff
	s_mov_b32 s5, 0x3fee6f0e
	s_waitcnt lgkmcnt(0)
	s_load_dwordx4 s[12:15], s[0:1], 0x0
	s_movk_i32 s0, 0xfa
	v_mul_lo_u16_sdwa v1, v1, s0 dst_sel:DWORD dst_unused:UNUSED_PAD src0_sel:WORD_1 src1_sel:DWORD
	v_sub_u16_e32 v130, v0, v1
	v_lshlrev_b32_e32 v129, 4, v130
	s_waitcnt lgkmcnt(0)
	v_mad_u64_u32 v[0:1], s[0:1], s14, v128, 0
	v_mad_u64_u32 v[2:3], s[0:1], s12, v130, 0
	s_mul_i32 s6, s13, 0xfa0
	s_mul_hi_u32 s7, s12, 0xfa0
	v_mad_u64_u32 v[4:5], s[0:1], s15, v128, v[1:2]
	s_add_i32 s6, s7, s6
	s_mul_i32 s7, s12, 0xfa0
	v_mad_u64_u32 v[5:6], s[0:1], s13, v130, v[3:4]
	v_mov_b32_e32 v1, v4
	v_lshlrev_b64 v[0:1], 4, v[0:1]
	v_mov_b32_e32 v6, s19
	v_mov_b32_e32 v3, v5
	v_add_co_u32_e32 v4, vcc, s18, v0
	v_addc_co_u32_e32 v5, vcc, v6, v1, vcc
	v_lshlrev_b64 v[0:1], 4, v[2:3]
	v_mov_b32_e32 v2, s9
	v_add_co_u32_e32 v0, vcc, v4, v0
	v_add_co_u32_e64 v116, s[0:1], s8, v129
	v_addc_co_u32_e32 v1, vcc, v5, v1, vcc
	v_addc_co_u32_e64 v14, vcc, 0, v2, s[0:1]
	v_mov_b32_e32 v3, s6
	v_add_co_u32_e32 v2, vcc, s7, v0
	v_addc_co_u32_e32 v3, vcc, v1, v3, vcc
	global_load_dwordx4 v[20:23], v[0:1], off
	global_load_dwordx4 v[24:27], v[2:3], off
	global_load_dwordx4 v[16:19], v129, s[8:9]
	global_load_dwordx4 v[8:11], v129, s[8:9] offset:4000
	v_mov_b32_e32 v1, s6
	v_add_co_u32_e32 v0, vcc, s7, v2
	v_addc_co_u32_e32 v1, vcc, v3, v1, vcc
	s_movk_i32 s8, 0x1000
	v_add_co_u32_e32 v2, vcc, s8, v116
	v_addc_co_u32_e32 v3, vcc, 0, v14, vcc
	global_load_dwordx4 v[4:7], v[2:3], off offset:3904
	v_mov_b32_e32 v2, s6
	v_add_co_u32_e32 v12, vcc, s7, v0
	v_addc_co_u32_e32 v13, vcc, v1, v2, vcc
	s_movk_i32 s8, 0x2000
	global_load_dwordx4 v[28:31], v[0:1], off
	v_add_co_u32_e32 v0, vcc, s8, v116
	v_addc_co_u32_e32 v1, vcc, 0, v14, vcc
	v_mov_b32_e32 v15, s6
	v_add_co_u32_e32 v40, vcc, s7, v12
	v_addc_co_u32_e32 v41, vcc, v13, v15, vcc
	s_movk_i32 s6, 0x3000
	v_add_co_u32_e32 v42, vcc, s6, v116
	global_load_dwordx4 v[32:35], v[12:13], off
	v_addc_co_u32_e32 v43, vcc, 0, v14, vcc
	global_load_dwordx4 v[0:3], v[0:1], off offset:3808
	s_nop 0
	global_load_dwordx4 v[12:15], v[42:43], off offset:3712
	global_load_dwordx4 v[36:39], v[40:41], off
	s_load_dwordx4 s[12:15], s[2:3], 0x0
	s_mov_b32 s6, 0x4755a5e
	s_mov_b32 s7, 0x3fe2cf23
	;; [unrolled: 1-line block ×8, first 2 shown]
	s_movk_i32 s2, 0x7d
	v_cmp_gt_u16_e32 vcc, s2, v130
                                        ; implicit-def: $vgpr76_vgpr77
                                        ; implicit-def: $vgpr80_vgpr81
                                        ; implicit-def: $vgpr84_vgpr85
                                        ; implicit-def: $vgpr88_vgpr89
                                        ; implicit-def: $vgpr92_vgpr93
	s_waitcnt vmcnt(7)
	v_mul_f64 v[40:41], v[22:23], v[18:19]
	v_mul_f64 v[42:43], v[20:21], v[18:19]
	s_waitcnt vmcnt(6)
	v_mul_f64 v[44:45], v[26:27], v[10:11]
	v_mul_f64 v[46:47], v[24:25], v[10:11]
	v_fma_f64 v[20:21], v[20:21], v[16:17], v[40:41]
	v_fma_f64 v[22:23], v[22:23], v[16:17], -v[42:43]
	v_fma_f64 v[24:25], v[24:25], v[8:9], v[44:45]
	v_fma_f64 v[26:27], v[26:27], v[8:9], -v[46:47]
	s_waitcnt vmcnt(4)
	v_mul_f64 v[48:49], v[30:31], v[6:7]
	v_mul_f64 v[50:51], v[28:29], v[6:7]
	v_fma_f64 v[28:29], v[28:29], v[4:5], v[48:49]
	v_fma_f64 v[30:31], v[30:31], v[4:5], -v[50:51]
	s_waitcnt vmcnt(2)
	v_mul_f64 v[52:53], v[34:35], v[2:3]
	v_mul_f64 v[54:55], v[32:33], v[2:3]
	s_waitcnt vmcnt(0)
	v_mul_f64 v[56:57], v[38:39], v[14:15]
	v_mul_f64 v[58:59], v[36:37], v[14:15]
	v_fma_f64 v[32:33], v[32:33], v[0:1], v[52:53]
	v_fma_f64 v[34:35], v[34:35], v[0:1], -v[54:55]
	v_fma_f64 v[36:37], v[36:37], v[12:13], v[56:57]
	v_fma_f64 v[38:39], v[38:39], v[12:13], -v[58:59]
	ds_write_b128 v129, v[20:23]
	ds_write_b128 v129, v[24:27] offset:4000
	ds_write_b128 v129, v[28:31] offset:8000
	;; [unrolled: 1-line block ×4, first 2 shown]
	s_waitcnt lgkmcnt(0)
	s_barrier
	ds_read_b128 v[20:23], v129 offset:8000
	ds_read_b128 v[24:27], v129 offset:12000
	ds_read_b128 v[28:31], v129
	ds_read_b128 v[32:35], v129 offset:4000
	ds_read_b128 v[36:39], v129 offset:16000
	s_waitcnt lgkmcnt(0)
	v_add_f64 v[40:41], v[20:21], v[24:25]
	v_add_f64 v[46:47], v[22:23], -v[26:27]
	v_add_f64 v[42:43], v[28:29], v[32:33]
	v_add_f64 v[44:45], v[34:35], -v[38:39]
	;; [unrolled: 2-line block ×3, first 2 shown]
	v_add_f64 v[50:51], v[36:37], -v[24:25]
	v_add_f64 v[54:55], v[20:21], -v[32:33]
	v_fma_f64 v[40:41], v[40:41], -0.5, v[28:29]
	v_add_f64 v[56:57], v[24:25], -v[36:37]
	v_add_f64 v[60:61], v[22:23], v[26:27]
	v_add_f64 v[42:43], v[42:43], v[20:21]
	v_fma_f64 v[28:29], v[52:53], -0.5, v[28:29]
	v_add_f64 v[62:63], v[34:35], v[38:39]
	v_add_f64 v[58:59], v[30:31], v[34:35]
	v_add_f64 v[32:33], v[32:33], -v[36:37]
	v_fma_f64 v[52:53], v[44:45], s[4:5], v[40:41]
	v_add_f64 v[20:21], v[20:21], -v[24:25]
	v_add_f64 v[48:49], v[48:49], v[50:51]
	v_add_f64 v[50:51], v[54:55], v[56:57]
	v_fma_f64 v[54:55], v[60:61], -0.5, v[30:31]
	v_add_f64 v[24:25], v[42:43], v[24:25]
	v_fma_f64 v[40:41], v[44:45], s[20:21], v[40:41]
	v_fma_f64 v[42:43], v[46:47], s[20:21], v[28:29]
	;; [unrolled: 1-line block ×3, first 2 shown]
	v_fma_f64 v[30:31], v[62:63], -0.5, v[30:31]
	v_add_f64 v[58:59], v[58:59], v[22:23]
	v_fma_f64 v[28:29], v[46:47], s[4:5], v[28:29]
	v_fma_f64 v[62:63], v[32:33], s[20:21], v[54:55]
	v_add_f64 v[56:57], v[24:25], v[36:37]
	v_fma_f64 v[24:25], v[46:47], s[22:23], v[40:41]
	v_fma_f64 v[36:37], v[44:45], s[6:7], v[42:43]
	;; [unrolled: 1-line block ×3, first 2 shown]
	v_add_f64 v[40:41], v[34:35], -v[22:23]
	v_add_f64 v[42:43], v[38:39], -v[26:27]
	v_fma_f64 v[46:47], v[32:33], s[4:5], v[54:55]
	v_fma_f64 v[52:53], v[20:21], s[4:5], v[30:31]
	v_add_f64 v[22:23], v[22:23], -v[34:35]
	v_add_f64 v[34:35], v[26:27], -v[38:39]
	v_fma_f64 v[30:31], v[20:21], s[20:21], v[30:31]
	v_fma_f64 v[28:29], v[44:45], s[22:23], v[28:29]
	v_add_f64 v[26:27], v[58:59], v[26:27]
	v_fma_f64 v[44:45], v[20:21], s[22:23], v[62:63]
	v_add_f64 v[40:41], v[40:41], v[42:43]
	v_fma_f64 v[20:21], v[20:21], s[6:7], v[46:47]
	v_fma_f64 v[42:43], v[32:33], s[22:23], v[52:53]
	v_add_f64 v[22:23], v[22:23], v[34:35]
	v_fma_f64 v[30:31], v[32:33], s[6:7], v[30:31]
	v_fma_f64 v[72:73], v[48:49], s[18:19], v[24:25]
	;; [unrolled: 1-line block ×4, first 2 shown]
	v_add_f64 v[58:59], v[26:27], v[38:39]
	v_fma_f64 v[62:63], v[40:41], s[18:19], v[44:45]
	v_fma_f64 v[74:75], v[40:41], s[18:19], v[20:21]
	;; [unrolled: 1-line block ×4, first 2 shown]
	v_mul_lo_u16_e32 v20, 5, v130
	v_lshlrev_b32_e32 v132, 4, v20
	s_barrier
	ds_write_b128 v132, v[56:59]
	ds_write_b128 v132, v[60:63] offset:16
	ds_write_b128 v132, v[64:67] offset:32
	;; [unrolled: 1-line block ×4, first 2 shown]
	s_waitcnt lgkmcnt(0)
	s_barrier
	s_and_saveexec_b64 s[2:3], vcc
	s_cbranch_execz .LBB0_3
; %bb.2:
	ds_read_b128 v[56:59], v129
	ds_read_b128 v[60:63], v129 offset:2000
	ds_read_b128 v[64:67], v129 offset:4000
	;; [unrolled: 1-line block ×9, first 2 shown]
.LBB0_3:
	s_or_b64 exec, exec, s[2:3]
	s_movk_i32 s2, 0xcd
	v_mul_lo_u16_sdwa v20, v130, s2 dst_sel:DWORD dst_unused:UNUSED_PAD src0_sel:BYTE_0 src1_sel:DWORD
	v_lshrrev_b16_e32 v127, 10, v20
	v_mul_lo_u16_e32 v20, 5, v127
	v_sub_u16_e32 v20, v130, v20
	v_and_b32_e32 v131, 0xff, v20
	v_mov_b32_e32 v21, s11
	s_movk_i32 s2, 0x90
	v_mov_b32_e32 v20, s10
	v_mad_u64_u32 v[96:97], s[2:3], v131, s2, v[20:21]
	global_load_dwordx4 v[24:27], v[96:97], off
	global_load_dwordx4 v[32:35], v[96:97], off offset:16
	global_load_dwordx4 v[20:23], v[96:97], off offset:32
	;; [unrolled: 1-line block ×8, first 2 shown]
	s_mov_b32 s2, 0x9b97f4a8
	s_mov_b32 s3, 0x3fe9e377
	s_waitcnt vmcnt(0) lgkmcnt(0)
	s_barrier
	v_mul_f64 v[96:97], v[62:63], v[26:27]
	v_mul_f64 v[98:99], v[60:61], v[26:27]
	;; [unrolled: 1-line block ×17, first 2 shown]
	v_fma_f64 v[60:61], v[60:61], v[24:25], -v[96:97]
	v_fma_f64 v[96:97], v[62:63], v[24:25], v[98:99]
	v_fma_f64 v[62:63], v[64:65], v[32:33], -v[100:101]
	v_fma_f64 v[64:65], v[66:67], v[32:33], v[102:103]
	;; [unrolled: 2-line block ×4, first 2 shown]
	v_fma_f64 v[72:73], v[76:77], v[40:41], -v[112:113]
	v_fma_f64 v[74:75], v[80:81], v[44:45], -v[117:118]
	v_fma_f64 v[76:77], v[88:89], v[52:53], -v[125:126]
	v_fma_f64 v[80:81], v[82:83], v[44:45], v[119:120]
	v_mul_f64 v[123:124], v[84:85], v[38:39]
	v_fma_f64 v[82:83], v[90:91], v[52:53], v[133:134]
	v_fma_f64 v[84:85], v[84:85], v[36:37], -v[121:122]
	v_fma_f64 v[88:89], v[92:93], v[48:49], -v[135:136]
	v_fma_f64 v[90:91], v[94:95], v[48:49], v[137:138]
	v_add_f64 v[92:93], v[68:69], v[74:75]
	v_add_f64 v[94:95], v[62:63], v[76:77]
	v_add_f64 v[100:101], v[70:71], v[80:81]
	v_add_f64 v[104:105], v[56:57], v[62:63]
	v_add_f64 v[106:107], v[58:59], v[64:65]
	v_add_f64 v[147:148], v[60:61], v[66:67]
	v_add_f64 v[102:103], v[64:65], v[82:83]
	v_add_f64 v[108:109], v[62:63], -v[68:69]
	v_add_f64 v[110:111], v[76:77], -v[74:75]
	;; [unrolled: 1-line block ×10, first 2 shown]
	v_add_f64 v[143:144], v[72:73], v[84:85]
	v_add_f64 v[149:150], v[72:73], -v[84:85]
	v_add_f64 v[62:63], v[62:63], -v[76:77]
	;; [unrolled: 1-line block ×3, first 2 shown]
	v_fma_f64 v[92:93], v[92:93], -0.5, v[56:57]
	v_fma_f64 v[56:57], v[94:95], -0.5, v[56:57]
	;; [unrolled: 1-line block ×3, first 2 shown]
	v_add_f64 v[68:69], v[104:105], v[68:69]
	v_add_f64 v[70:71], v[106:107], v[70:71]
	;; [unrolled: 1-line block ×3, first 2 shown]
	v_fma_f64 v[78:79], v[78:79], v[40:41], v[114:115]
	v_fma_f64 v[86:87], v[86:87], v[36:37], v[123:124]
	v_add_f64 v[114:115], v[74:75], -v[76:77]
	v_add_f64 v[123:124], v[80:81], -v[82:83]
	;; [unrolled: 1-line block ×4, first 2 shown]
	v_add_f64 v[145:146], v[66:67], v[88:89]
	v_fma_f64 v[58:59], v[102:103], -0.5, v[58:59]
	v_add_f64 v[100:101], v[108:109], v[110:111]
	v_add_f64 v[108:109], v[117:118], v[119:120]
	;; [unrolled: 1-line block ×5, first 2 shown]
	v_fma_f64 v[74:75], v[64:65], s[4:5], v[92:93]
	v_fma_f64 v[80:81], v[64:65], s[20:21], v[92:93]
	;; [unrolled: 1-line block ×5, first 2 shown]
	v_add_f64 v[153:154], v[78:79], -v[86:87]
	v_add_f64 v[155:156], v[78:79], v[86:87]
	v_add_f64 v[157:158], v[98:99], v[90:91]
	;; [unrolled: 1-line block ×3, first 2 shown]
	v_fma_f64 v[112:113], v[143:144], -0.5, v[60:61]
	v_fma_f64 v[60:61], v[145:146], -0.5, v[60:61]
	v_fma_f64 v[92:93], v[141:142], s[4:5], v[56:57]
	v_fma_f64 v[119:120], v[139:140], s[4:5], v[58:59]
	;; [unrolled: 1-line block ×3, first 2 shown]
	v_add_f64 v[56:57], v[68:69], v[76:77]
	v_fma_f64 v[74:75], v[141:142], s[6:7], v[74:75]
	v_fma_f64 v[76:77], v[141:142], s[22:23], v[80:81]
	;; [unrolled: 1-line block ×3, first 2 shown]
	v_add_f64 v[68:69], v[70:71], v[82:83]
	v_fma_f64 v[82:83], v[139:140], s[6:7], v[94:95]
	v_add_f64 v[151:152], v[66:67], -v[88:89]
	v_add_f64 v[66:67], v[98:99], -v[90:91]
	v_add_f64 v[110:111], v[121:122], v[123:124]
	v_fma_f64 v[114:115], v[155:156], -0.5, v[96:97]
	v_fma_f64 v[123:124], v[153:154], s[20:21], v[60:61]
	v_fma_f64 v[60:61], v[153:154], s[4:5], v[60:61]
	;; [unrolled: 1-line block ×8, first 2 shown]
	v_fma_f64 v[80:81], v[157:158], -0.5, v[96:97]
	v_add_f64 v[82:83], v[96:97], v[98:99]
	v_fma_f64 v[121:122], v[66:67], s[4:5], v[112:113]
	v_fma_f64 v[112:113], v[66:67], s[20:21], v[112:113]
	;; [unrolled: 1-line block ×3, first 2 shown]
	v_add_f64 v[58:59], v[72:73], v[88:89]
	v_fma_f64 v[117:118], v[66:67], s[6:7], v[123:124]
	v_fma_f64 v[119:120], v[66:67], s[22:23], v[60:61]
	;; [unrolled: 1-line block ×6, first 2 shown]
	v_add_f64 v[84:85], v[98:99], -v[78:79]
	v_add_f64 v[92:93], v[90:91], -v[86:87]
	;; [unrolled: 1-line block ×3, first 2 shown]
	v_fma_f64 v[96:97], v[151:152], s[20:21], v[114:115]
	v_add_f64 v[98:99], v[86:87], -v[90:91]
	v_fma_f64 v[100:101], v[149:150], s[4:5], v[80:81]
	v_add_f64 v[78:79], v[82:83], v[78:79]
	v_fma_f64 v[82:83], v[151:152], s[4:5], v[114:115]
	v_fma_f64 v[80:81], v[149:150], s[20:21], v[80:81]
	v_add_f64 v[104:105], v[125:126], v[133:134]
	v_add_f64 v[106:107], v[135:136], v[137:138]
	v_fma_f64 v[88:89], v[153:154], s[6:7], v[121:122]
	v_fma_f64 v[112:113], v[153:154], s[22:23], v[112:113]
	v_add_f64 v[84:85], v[84:85], v[92:93]
	v_fma_f64 v[92:93], v[149:150], s[22:23], v[96:97]
	v_add_f64 v[94:95], v[94:95], v[98:99]
	;; [unrolled: 2-line block ×3, first 2 shown]
	v_fma_f64 v[82:83], v[149:150], s[6:7], v[82:83]
	v_fma_f64 v[80:81], v[151:152], s[6:7], v[80:81]
	;; [unrolled: 1-line block ×8, first 2 shown]
	v_add_f64 v[78:79], v[78:79], v[90:91]
	v_fma_f64 v[90:91], v[84:85], s[18:19], v[82:83]
	v_fma_f64 v[84:85], v[94:95], s[18:19], v[80:81]
	v_mul_f64 v[82:83], v[88:89], s[22:23]
	v_mul_f64 v[102:103], v[86:87], s[20:21]
	;; [unrolled: 1-line block ×8, first 2 shown]
	v_fma_f64 v[70:71], v[108:109], s[18:19], v[70:71]
	v_fma_f64 v[108:109], v[92:93], s[2:3], v[82:83]
	;; [unrolled: 1-line block ×5, first 2 shown]
	v_fma_f64 v[84:85], v[84:85], s[4:5], -v[104:105]
	v_fma_f64 v[86:87], v[90:91], s[6:7], -v[114:115]
	;; [unrolled: 1-line block ×4, first 2 shown]
	v_add_f64 v[88:89], v[56:57], -v[58:59]
	v_add_f64 v[90:91], v[68:69], -v[78:79]
	;; [unrolled: 1-line block ×10, first 2 shown]
	v_mul_u32_u24_e32 v133, 50, v127
	s_and_saveexec_b64 s[2:3], vcc
	s_cbranch_execz .LBB0_5
; %bb.4:
	v_add_f64 v[112:113], v[76:77], v[112:113]
	v_add_f64 v[78:79], v[68:69], v[78:79]
	;; [unrolled: 1-line block ×10, first 2 shown]
	v_add_lshl_u32 v56, v133, v131, 4
	ds_write_b128 v56, v[76:79]
	ds_write_b128 v56, v[68:71] offset:80
	ds_write_b128 v56, v[117:120] offset:160
	;; [unrolled: 1-line block ×9, first 2 shown]
.LBB0_5:
	s_or_b64 exec, exec, s[2:3]
	v_mov_b32_e32 v56, 41
	v_mul_lo_u16_sdwa v56, v130, v56 dst_sel:DWORD dst_unused:UNUSED_PAD src0_sel:BYTE_0 src1_sel:DWORD
	v_lshrrev_b16_e32 v127, 11, v56
	v_mul_lo_u16_e32 v56, 50, v127
	v_sub_u16_e32 v56, v130, v56
	v_and_b32_e32 v136, 0xff, v56
	v_lshlrev_b32_e32 v72, 6, v136
	s_waitcnt lgkmcnt(0)
	s_barrier
	global_load_dwordx4 v[68:71], v72, s[10:11] offset:720
	global_load_dwordx4 v[64:67], v72, s[10:11] offset:736
	;; [unrolled: 1-line block ×4, first 2 shown]
	ds_read_b128 v[72:75], v129
	ds_read_b128 v[76:79], v129 offset:4000
	ds_read_b128 v[80:83], v129 offset:8000
	;; [unrolled: 1-line block ×4, first 2 shown]
	s_mov_b32 s22, 0x134454ff
	s_mov_b32 s23, 0x3fee6f0e
	;; [unrolled: 1-line block ×8, first 2 shown]
	v_lshlrev_b32_e32 v153, 6, v130
	s_waitcnt vmcnt(0) lgkmcnt(0)
	s_barrier
	s_movk_i32 s2, 0x4e20
	s_movk_i32 s3, 0x4000
	;; [unrolled: 1-line block ×4, first 2 shown]
	s_mov_b32 s8, 0x8000
	v_mul_f64 v[112:113], v[78:79], v[70:71]
	v_mul_f64 v[114:115], v[76:77], v[70:71]
	;; [unrolled: 1-line block ×8, first 2 shown]
	v_fma_f64 v[76:77], v[76:77], v[68:69], -v[112:113]
	v_fma_f64 v[78:79], v[78:79], v[68:69], v[114:115]
	v_fma_f64 v[80:81], v[80:81], v[64:65], -v[117:118]
	v_fma_f64 v[82:83], v[82:83], v[64:65], v[119:120]
	;; [unrolled: 2-line block ×4, first 2 shown]
	v_mul_u32_u24_e32 v112, 0xfa, v127
	v_add_lshl_u32 v134, v112, v136, 4
	v_add_f64 v[112:113], v[72:73], v[76:77]
	v_add_f64 v[121:122], v[76:77], -v[80:81]
	v_add_f64 v[114:115], v[80:81], v[84:85]
	v_add_f64 v[139:140], v[74:75], v[78:79]
	v_add_f64 v[123:124], v[108:109], -v[84:85]
	v_add_f64 v[141:142], v[82:83], v[86:87]
	v_add_f64 v[125:126], v[76:77], v[108:109]
	v_add_f64 v[149:150], v[78:79], v[110:111]
	v_add_f64 v[117:118], v[78:79], -v[110:111]
	v_add_f64 v[119:120], v[82:83], -v[86:87]
	v_add_f64 v[135:136], v[80:81], -v[76:77]
	v_add_f64 v[137:138], v[84:85], -v[108:109]
	v_add_f64 v[76:77], v[76:77], -v[108:109]
	v_add_f64 v[143:144], v[80:81], -v[84:85]
	v_add_f64 v[145:146], v[78:79], -v[82:83]
	v_add_f64 v[78:79], v[82:83], -v[78:79]
	v_add_f64 v[151:152], v[86:87], -v[110:111]
	v_add_f64 v[80:81], v[112:113], v[80:81]
	v_fma_f64 v[112:113], v[114:115], -0.5, v[72:73]
	v_add_f64 v[114:115], v[121:122], v[123:124]
	v_add_f64 v[82:83], v[139:140], v[82:83]
	v_fma_f64 v[123:124], v[141:142], -0.5, v[74:75]
	v_fma_f64 v[72:73], v[125:126], -0.5, v[72:73]
	v_fma_f64 v[74:75], v[149:150], -0.5, v[74:75]
	v_add_f64 v[147:148], v[110:111], -v[86:87]
	v_add_f64 v[121:122], v[135:136], v[137:138]
	v_add_f64 v[135:136], v[78:79], v[151:152]
	;; [unrolled: 1-line block ×3, first 2 shown]
	v_fma_f64 v[80:81], v[117:118], s[22:23], v[112:113]
	v_add_f64 v[82:83], v[82:83], v[86:87]
	v_fma_f64 v[86:87], v[76:77], s[26:27], v[123:124]
	v_fma_f64 v[84:85], v[117:118], s[26:27], v[112:113]
	;; [unrolled: 1-line block ×7, first 2 shown]
	v_add_f64 v[125:126], v[145:146], v[147:148]
	v_add_f64 v[72:73], v[78:79], v[108:109]
	v_fma_f64 v[78:79], v[119:120], s[20:21], v[80:81]
	v_add_f64 v[74:75], v[82:83], v[110:111]
	v_fma_f64 v[82:83], v[143:144], s[24:25], v[86:87]
	v_fma_f64 v[80:81], v[119:120], s[24:25], v[84:85]
	;; [unrolled: 1-line block ×15, first 2 shown]
	ds_write_b128 v134, v[72:75]
	ds_write_b128 v134, v[76:79] offset:800
	ds_write_b128 v134, v[84:87] offset:1600
	;; [unrolled: 1-line block ×4, first 2 shown]
	s_waitcnt lgkmcnt(0)
	s_barrier
	global_load_dwordx4 v[84:87], v153, s[10:11] offset:3920
	global_load_dwordx4 v[80:83], v153, s[10:11] offset:3936
	;; [unrolled: 1-line block ×4, first 2 shown]
	v_mov_b32_e32 v108, s9
	v_addc_co_u32_e64 v178, s[0:1], 0, v108, s[0:1]
	ds_read_b128 v[108:111], v129 offset:4000
	ds_read_b128 v[112:115], v129
	ds_read_b128 v[117:120], v129 offset:8000
	ds_read_b128 v[121:124], v129 offset:12000
	;; [unrolled: 1-line block ×3, first 2 shown]
	v_add_co_u32_e64 v139, s[4:5], s2, v116
	v_add_co_u32_e64 v141, s[0:1], s3, v116
	;; [unrolled: 1-line block ×4, first 2 shown]
	v_addc_co_u32_e64 v142, s[0:1], 0, v178, s[0:1]
	v_addc_co_u32_e64 v140, s[4:5], 0, v178, s[4:5]
	;; [unrolled: 1-line block ×3, first 2 shown]
	s_waitcnt vmcnt(3) lgkmcnt(4)
	v_mul_f64 v[125:126], v[110:111], v[86:87]
	v_mul_f64 v[146:147], v[108:109], v[86:87]
	s_waitcnt vmcnt(2) lgkmcnt(2)
	v_mul_f64 v[148:149], v[119:120], v[82:83]
	v_mul_f64 v[150:151], v[117:118], v[82:83]
	;; [unrolled: 3-line block ×4, first 2 shown]
	v_fma_f64 v[108:109], v[108:109], v[84:85], -v[125:126]
	v_fma_f64 v[110:111], v[110:111], v[84:85], v[146:147]
	v_fma_f64 v[117:118], v[117:118], v[80:81], -v[148:149]
	v_fma_f64 v[119:120], v[119:120], v[80:81], v[150:151]
	v_fma_f64 v[121:122], v[121:122], v[76:77], -v[152:153]
	v_fma_f64 v[123:124], v[123:124], v[76:77], v[154:155]
	v_fma_f64 v[135:136], v[135:136], v[72:73], -v[158:159]
	v_fma_f64 v[125:126], v[137:138], v[72:73], v[156:157]
	v_add_f64 v[146:147], v[112:113], v[108:109]
	v_add_f64 v[164:165], v[114:115], v[110:111]
	v_add_f64 v[154:155], v[108:109], -v[117:118]
	v_add_f64 v[160:161], v[117:118], -v[108:109]
	v_add_f64 v[148:149], v[117:118], v[121:122]
	v_add_f64 v[166:167], v[119:120], v[123:124]
	v_add_f64 v[156:157], v[135:136], -v[121:122]
	v_add_f64 v[158:159], v[108:109], v[135:136]
	v_add_f64 v[168:169], v[108:109], -v[135:136]
	v_add_f64 v[108:109], v[110:111], -v[119:120]
	;; [unrolled: 1-line block ×3, first 2 shown]
	v_add_f64 v[174:175], v[110:111], v[125:126]
	v_add_co_u32_e64 v137, s[8:9], s8, v116
	v_add_f64 v[150:151], v[110:111], -v[125:126]
	v_add_f64 v[152:153], v[119:120], -v[123:124]
	;; [unrolled: 1-line block ×6, first 2 shown]
	v_add_f64 v[116:117], v[146:147], v[117:118]
	v_fma_f64 v[146:147], v[148:149], -0.5, v[112:113]
	v_add_f64 v[148:149], v[154:155], v[156:157]
	v_add_f64 v[118:119], v[164:165], v[119:120]
	v_fma_f64 v[156:157], v[166:167], -0.5, v[114:115]
	v_fma_f64 v[112:113], v[158:159], -0.5, v[112:113]
	v_add_f64 v[158:159], v[108:109], v[172:173]
	v_fma_f64 v[108:109], v[174:175], -0.5, v[114:115]
	v_add_f64 v[154:155], v[160:161], v[162:163]
	v_add_f64 v[160:161], v[110:111], v[176:177]
	;; [unrolled: 1-line block ×3, first 2 shown]
	v_fma_f64 v[114:115], v[150:151], s[22:23], v[146:147]
	v_add_f64 v[118:119], v[118:119], v[123:124]
	v_fma_f64 v[122:123], v[168:169], s[26:27], v[156:157]
	v_fma_f64 v[116:117], v[150:151], s[26:27], v[146:147]
	;; [unrolled: 1-line block ×7, first 2 shown]
	v_add_f64 v[108:109], v[110:111], v[135:136]
	v_fma_f64 v[114:115], v[152:153], s[20:21], v[114:115]
	v_add_f64 v[110:111], v[118:119], v[125:126]
	v_fma_f64 v[118:119], v[170:171], s[24:25], v[122:123]
	v_fma_f64 v[120:121], v[150:151], s[20:21], v[120:121]
	;; [unrolled: 1-line block ×15, first 2 shown]
	ds_write_b128 v129, v[108:111]
	ds_write_b128 v129, v[112:115] offset:4000
	ds_write_b128 v129, v[120:123] offset:8000
	;; [unrolled: 1-line block ×4, first 2 shown]
	s_waitcnt lgkmcnt(0)
	s_barrier
	global_load_dwordx4 v[108:111], v[141:142], off offset:3616
	global_load_dwordx4 v[112:115], v[139:140], off offset:4000
	v_addc_co_u32_e64 v146, s[0:1], 0, v178, s[6:7]
	global_load_dwordx4 v[116:119], v[143:144], off offset:3424
	global_load_dwordx4 v[120:123], v[145:146], off offset:3328
	v_addc_co_u32_e64 v138, s[0:1], 0, v178, s[8:9]
	global_load_dwordx4 v[124:127], v[137:138], off offset:3232
	ds_read_b128 v[135:138], v129
	ds_read_b128 v[139:142], v129 offset:4000
	ds_read_b128 v[143:146], v129 offset:8000
	;; [unrolled: 1-line block ×4, first 2 shown]
	s_waitcnt vmcnt(4) lgkmcnt(4)
	v_mul_f64 v[155:156], v[137:138], v[110:111]
	v_mul_f64 v[110:111], v[135:136], v[110:111]
	s_waitcnt vmcnt(3) lgkmcnt(3)
	v_mul_f64 v[157:158], v[141:142], v[114:115]
	v_mul_f64 v[114:115], v[139:140], v[114:115]
	;; [unrolled: 3-line block ×5, first 2 shown]
	v_fma_f64 v[135:136], v[135:136], v[108:109], -v[155:156]
	v_fma_f64 v[137:138], v[137:138], v[108:109], v[110:111]
	v_fma_f64 v[108:109], v[139:140], v[112:113], -v[157:158]
	v_fma_f64 v[110:111], v[141:142], v[112:113], v[114:115]
	;; [unrolled: 2-line block ×5, first 2 shown]
	ds_write_b128 v129, v[135:138]
	ds_write_b128 v129, v[108:111] offset:4000
	ds_write_b128 v129, v[112:115] offset:8000
	;; [unrolled: 1-line block ×4, first 2 shown]
	s_waitcnt lgkmcnt(0)
	s_barrier
	ds_read_b128 v[108:111], v129
	ds_read_b128 v[112:115], v129 offset:4000
	ds_read_b128 v[116:119], v129 offset:8000
	;; [unrolled: 1-line block ×4, first 2 shown]
	s_waitcnt lgkmcnt(0)
	v_add_f64 v[135:136], v[108:109], v[112:113]
	v_add_f64 v[143:144], v[112:113], -v[116:117]
	v_add_f64 v[137:138], v[116:117], v[120:121]
	v_add_f64 v[145:146], v[124:125], -v[120:121]
	v_add_f64 v[147:148], v[112:113], v[124:125]
	v_add_f64 v[153:154], v[110:111], v[114:115]
	;; [unrolled: 1-line block ×4, first 2 shown]
	v_add_f64 v[139:140], v[114:115], -v[126:127]
	v_add_f64 v[141:142], v[118:119], -v[122:123]
	;; [unrolled: 1-line block ×9, first 2 shown]
	v_add_f64 v[116:117], v[135:136], v[116:117]
	v_fma_f64 v[135:136], v[137:138], -0.5, v[108:109]
	v_add_f64 v[137:138], v[143:144], v[145:146]
	v_fma_f64 v[108:109], v[147:148], -0.5, v[108:109]
	v_add_f64 v[118:119], v[153:154], v[118:119]
	v_fma_f64 v[145:146], v[155:156], -0.5, v[110:111]
	v_fma_f64 v[110:111], v[163:164], -0.5, v[110:111]
	v_add_f64 v[161:162], v[126:127], -v[122:123]
	v_add_f64 v[143:144], v[149:150], v[151:152]
	v_add_f64 v[149:150], v[114:115], v[165:166]
	;; [unrolled: 1-line block ×3, first 2 shown]
	v_fma_f64 v[116:117], v[139:140], s[26:27], v[135:136]
	v_fma_f64 v[120:121], v[139:140], s[22:23], v[135:136]
	;; [unrolled: 1-line block ×4, first 2 shown]
	v_add_f64 v[118:119], v[118:119], v[122:123]
	v_fma_f64 v[122:123], v[112:113], s[22:23], v[145:146]
	v_fma_f64 v[145:146], v[112:113], s[26:27], v[145:146]
	;; [unrolled: 1-line block ×4, first 2 shown]
	v_add_f64 v[147:148], v[159:160], v[161:162]
	v_add_f64 v[108:109], v[114:115], v[124:125]
	v_fma_f64 v[114:115], v[141:142], s[24:25], v[116:117]
	v_fma_f64 v[116:117], v[141:142], s[20:21], v[120:121]
	;; [unrolled: 1-line block ×4, first 2 shown]
	v_add_f64 v[110:111], v[118:119], v[126:127]
	v_fma_f64 v[118:119], v[157:158], s[20:21], v[122:123]
	v_fma_f64 v[122:123], v[112:113], s[20:21], v[153:154]
	;; [unrolled: 1-line block ×12, first 2 shown]
	s_barrier
	ds_write_b128 v132, v[108:111]
	ds_write_b128 v132, v[112:115] offset:16
	ds_write_b128 v132, v[124:127] offset:32
	;; [unrolled: 1-line block ×4, first 2 shown]
	s_waitcnt lgkmcnt(0)
	s_barrier
	s_and_saveexec_b64 s[0:1], vcc
	s_cbranch_execz .LBB0_7
; %bb.6:
	ds_read_b128 v[108:111], v129
	ds_read_b128 v[112:115], v129 offset:2000
	ds_read_b128 v[124:127], v129 offset:4000
	;; [unrolled: 1-line block ×9, first 2 shown]
.LBB0_7:
	s_or_b64 exec, exec, s[0:1]
	s_waitcnt lgkmcnt(0)
	s_barrier
	s_and_saveexec_b64 s[0:1], vcc
	s_cbranch_execz .LBB0_9
; %bb.8:
	v_mul_f64 v[135:136], v[30:31], v[120:121]
	v_mul_f64 v[137:138], v[46:47], v[96:97]
	;; [unrolled: 1-line block ×8, first 2 shown]
	v_fma_f64 v[122:123], v[28:29], v[122:123], -v[135:136]
	v_fma_f64 v[135:136], v[44:45], v[98:99], -v[137:138]
	v_mul_f64 v[98:99], v[42:43], v[90:91]
	v_mul_f64 v[137:138], v[38:39], v[94:95]
	v_mul_f64 v[42:43], v[42:43], v[88:89]
	v_mul_f64 v[38:39], v[38:39], v[92:93]
	v_fma_f64 v[106:107], v[52:53], v[106:107], -v[141:142]
	v_fma_f64 v[52:53], v[52:53], v[104:105], v[54:55]
	v_fma_f64 v[44:45], v[44:45], v[96:97], v[46:47]
	v_mul_f64 v[96:97], v[22:23], v[118:119]
	v_fma_f64 v[88:89], v[40:41], v[88:89], v[98:99]
	v_mul_f64 v[98:99], v[50:51], v[102:103]
	v_mul_f64 v[104:105], v[26:27], v[114:115]
	v_fma_f64 v[40:41], v[40:41], v[90:91], -v[42:43]
	v_mul_f64 v[26:27], v[26:27], v[112:113]
	v_fma_f64 v[38:39], v[36:37], v[94:95], -v[38:39]
	v_fma_f64 v[36:37], v[36:37], v[92:93], v[137:138]
	v_mul_f64 v[22:23], v[22:23], v[116:117]
	v_mul_f64 v[42:43], v[50:51], v[100:101]
	v_fma_f64 v[50:51], v[20:21], v[116:117], v[96:97]
	v_fma_f64 v[90:91], v[48:49], v[100:101], v[98:99]
	;; [unrolled: 1-line block ×3, first 2 shown]
	v_fma_f64 v[24:25], v[24:25], v[114:115], -v[26:27]
	v_add_f64 v[26:27], v[40:41], v[38:39]
	v_fma_f64 v[126:127], v[32:33], v[126:127], -v[139:140]
	v_fma_f64 v[32:33], v[32:33], v[124:125], v[34:35]
	v_add_f64 v[34:35], v[122:123], v[135:136]
	v_add_f64 v[94:95], v[88:89], v[36:37]
	v_fma_f64 v[20:21], v[20:21], v[118:119], -v[22:23]
	v_fma_f64 v[42:43], v[48:49], v[102:103], -v[42:43]
	v_add_f64 v[96:97], v[50:51], -v[90:91]
	v_fma_f64 v[26:27], v[26:27], -0.5, v[24:25]
	s_mov_b32 s2, 0x134454ff
	s_mov_b32 s3, 0xbfee6f0e
	v_fma_f64 v[28:29], v[28:29], v[120:121], v[30:31]
	v_add_f64 v[54:55], v[32:33], -v[52:53]
	v_fma_f64 v[34:35], v[34:35], -0.5, v[110:111]
	v_add_f64 v[98:99], v[50:51], -v[88:89]
	v_fma_f64 v[94:95], v[94:95], -0.5, v[92:93]
	v_add_f64 v[100:101], v[20:21], -v[42:43]
	v_add_f64 v[102:103], v[90:91], -v[36:37]
	;; [unrolled: 1-line block ×4, first 2 shown]
	v_fma_f64 v[114:115], v[96:97], s[2:3], v[26:27]
	v_add_f64 v[116:117], v[88:89], -v[36:37]
	s_mov_b32 s4, 0x4755a5e
	s_mov_b32 s11, 0x3fee6f0e
	;; [unrolled: 1-line block ×4, first 2 shown]
	v_add_f64 v[30:31], v[126:127], -v[122:123]
	v_add_f64 v[46:47], v[106:107], -v[135:136]
	v_fma_f64 v[22:23], v[54:55], s[2:3], v[34:35]
	v_add_f64 v[48:49], v[28:29], -v[44:45]
	v_fma_f64 v[118:119], v[100:101], s[10:11], v[94:95]
	v_add_f64 v[120:121], v[40:41], -v[38:39]
	v_add_f64 v[98:99], v[98:99], v[102:103]
	v_add_f64 v[102:103], v[104:105], v[112:113]
	v_fma_f64 v[104:105], v[116:117], s[4:5], v[114:115]
	s_mov_b32 s6, 0x372fe950
	s_mov_b32 s9, 0x3fe2cf23
	;; [unrolled: 1-line block ×4, first 2 shown]
	v_fma_f64 v[112:113], v[120:121], s[8:9], v[118:119]
	v_add_f64 v[30:31], v[30:31], v[46:47]
	v_fma_f64 v[22:23], v[48:49], s[4:5], v[22:23]
	v_fma_f64 v[104:105], v[102:103], s[6:7], v[104:105]
	v_add_f64 v[114:115], v[20:21], v[42:43]
	s_mov_b32 s18, 0x9b97f4a8
	s_mov_b32 s19, 0xbfe9e377
	v_add_f64 v[124:125], v[126:127], v[106:107]
	v_fma_f64 v[46:47], v[98:99], s[6:7], v[112:113]
	v_add_f64 v[112:113], v[50:51], v[90:91]
	v_fma_f64 v[137:138], v[30:31], s[6:7], v[22:23]
	v_mul_f64 v[118:119], v[104:105], s[18:19]
	v_fma_f64 v[22:23], v[114:115], -0.5, v[24:25]
	v_fma_f64 v[26:27], v[96:97], s[10:11], v[26:27]
	v_fma_f64 v[94:95], v[100:101], s[2:3], v[94:95]
	;; [unrolled: 1-line block ×3, first 2 shown]
	v_add_f64 v[139:140], v[36:37], -v[90:91]
	v_fma_f64 v[112:113], v[112:113], -0.5, v[92:93]
	v_add_f64 v[143:144], v[40:41], -v[20:21]
	v_fma_f64 v[114:115], v[46:47], s[8:9], v[118:119]
	v_fma_f64 v[118:119], v[124:125], -0.5, v[110:111]
	v_fma_f64 v[147:148], v[116:117], s[10:11], v[22:23]
	v_fma_f64 v[155:156], v[116:117], s[2:3], v[22:23]
	v_fma_f64 v[26:27], v[116:117], s[8:9], v[26:27]
	v_fma_f64 v[94:95], v[120:121], s[4:5], v[94:95]
	v_add_f64 v[116:117], v[28:29], v[44:45]
	v_add_f64 v[124:125], v[88:89], -v[50:51]
	v_fma_f64 v[141:142], v[120:121], s[2:3], v[112:113]
	v_add_f64 v[145:146], v[38:39], -v[42:43]
	v_add_f64 v[149:150], v[122:123], -v[126:127]
	;; [unrolled: 1-line block ×3, first 2 shown]
	v_fma_f64 v[153:154], v[48:49], s[10:11], v[118:119]
	v_fma_f64 v[118:119], v[48:49], s[2:3], v[118:119]
	;; [unrolled: 1-line block ×3, first 2 shown]
	v_add_f64 v[20:21], v[24:25], v[20:21]
	v_fma_f64 v[94:95], v[98:99], s[6:7], v[94:95]
	v_fma_f64 v[24:25], v[116:117], -0.5, v[108:109]
	v_add_f64 v[98:99], v[126:127], -v[106:107]
	v_add_f64 v[124:125], v[124:125], v[139:140]
	v_fma_f64 v[139:140], v[100:101], s[8:9], v[141:142]
	v_add_f64 v[141:142], v[143:144], v[145:146]
	v_fma_f64 v[143:144], v[96:97], s[4:5], v[147:148]
	v_fma_f64 v[112:113], v[120:121], s[10:11], v[112:113]
	v_add_f64 v[147:148], v[149:150], v[151:152]
	v_fma_f64 v[149:150], v[54:55], s[4:5], v[153:154]
	v_fma_f64 v[54:55], v[54:55], s[8:9], v[118:119]
	v_fma_f64 v[118:119], v[30:31], s[6:7], v[34:35]
	v_fma_f64 v[102:103], v[102:103], s[6:7], v[26:27]
	v_add_f64 v[26:27], v[110:111], v[126:127]
	v_add_f64 v[20:21], v[20:21], v[40:41]
	v_add_f64 v[34:35], v[32:33], -v[28:29]
	v_add_f64 v[40:41], v[32:33], v[52:53]
	v_add_f64 v[110:111], v[52:53], -v[44:45]
	v_fma_f64 v[116:117], v[98:99], s[10:11], v[24:25]
	v_add_f64 v[120:121], v[122:123], -v[135:136]
	v_fma_f64 v[112:113], v[100:101], s[4:5], v[112:113]
	v_add_f64 v[26:27], v[26:27], v[122:123]
	v_add_f64 v[20:21], v[20:21], v[38:39]
	v_fma_f64 v[139:140], v[124:125], s[6:7], v[139:140]
	v_fma_f64 v[40:41], v[40:41], -0.5, v[108:109]
	v_add_f64 v[110:111], v[34:35], v[110:111]
	v_fma_f64 v[145:146], v[96:97], s[8:9], v[155:156]
	v_fma_f64 v[38:39], v[120:121], s[8:9], v[116:117]
	;; [unrolled: 1-line block ×3, first 2 shown]
	v_add_f64 v[124:125], v[26:27], v[135:136]
	v_add_f64 v[116:117], v[28:29], -v[32:33]
	v_add_f64 v[135:136], v[20:21], v[42:43]
	v_fma_f64 v[126:127], v[120:121], s[2:3], v[40:41]
	v_fma_f64 v[20:21], v[120:121], s[10:11], v[40:41]
	v_add_f64 v[32:33], v[108:109], v[32:33]
	v_fma_f64 v[40:41], v[110:111], s[6:7], v[38:39]
	v_add_f64 v[38:39], v[92:93], v[50:51]
	v_fma_f64 v[143:144], v[141:142], s[6:7], v[143:144]
	v_fma_f64 v[141:142], v[141:142], s[6:7], v[145:146]
	v_mul_f64 v[42:43], v[104:105], s[4:5]
	v_fma_f64 v[24:25], v[98:99], s[2:3], v[24:25]
	v_add_f64 v[106:107], v[124:125], v[106:107]
	v_add_f64 v[28:29], v[32:33], v[28:29]
	v_add_f64 v[124:125], v[44:45], -v[52:53]
	v_add_f64 v[32:33], v[38:39], v[88:89]
	s_mov_b32 s23, 0x3fe9e377
	s_mov_b32 s22, s18
	;; [unrolled: 1-line block ×4, first 2 shown]
	v_mul_f64 v[112:113], v[141:142], s[6:7]
	v_add_f64 v[28:29], v[28:29], v[44:45]
	v_mul_f64 v[30:31], v[102:103], s[22:23]
	v_add_f64 v[32:33], v[32:33], v[36:37]
	v_fma_f64 v[92:93], v[98:99], s[8:9], v[126:127]
	v_fma_f64 v[20:21], v[98:99], s[4:5], v[20:21]
	;; [unrolled: 1-line block ×3, first 2 shown]
	v_mul_f64 v[38:39], v[141:142], s[2:3]
	v_fma_f64 v[42:43], v[120:121], s[4:5], v[24:25]
	v_mul_f64 v[36:37], v[102:103], s[4:5]
	v_mul_f64 v[96:97], v[143:144], s[20:21]
	v_add_f64 v[50:51], v[116:117], v[124:125]
	v_mul_f64 v[104:105], v[143:144], s[2:3]
	v_add_f64 v[102:103], v[28:29], v[52:53]
	v_add_f64 v[32:33], v[32:33], v[90:91]
	v_fma_f64 v[54:55], v[147:148], s[6:7], v[54:55]
	v_fma_f64 v[112:113], v[100:101], s[10:11], v[112:113]
	;; [unrolled: 1-line block ×11, first 2 shown]
	v_add_f64 v[90:91], v[106:107], v[135:136]
	v_add_f64 v[88:89], v[102:103], v[32:33]
	v_add_f64 v[30:31], v[54:55], -v[112:113]
	v_add_f64 v[50:51], v[54:55], v[112:113]
	v_add_f64 v[54:55], v[118:119], v[122:123]
	;; [unrolled: 1-line block ×3, first 2 shown]
	v_add_f64 v[26:27], v[48:49], -v[96:97]
	v_add_f64 v[46:47], v[48:49], v[96:97]
	v_add_f64 v[48:49], v[108:109], v[44:45]
	v_add_f64 v[28:29], v[108:109], -v[44:45]
	v_add_f64 v[44:45], v[92:93], v[104:105]
	v_add_f64 v[20:21], v[40:41], -v[98:99]
	v_add_f64 v[42:43], v[137:138], v[114:115]
	v_add_f64 v[40:41], v[40:41], v[98:99]
	v_add_f64 v[38:39], v[106:107], -v[135:136]
	v_add_f64 v[36:37], v[102:103], -v[32:33]
	;; [unrolled: 1-line block ×5, first 2 shown]
	v_add_lshl_u32 v92, v133, v131, 4
	v_add_f64 v[22:23], v[137:138], -v[114:115]
	ds_write_b128 v92, v[88:91]
	ds_write_b128 v92, v[52:55] offset:80
	ds_write_b128 v92, v[48:51] offset:160
	ds_write_b128 v92, v[44:47] offset:240
	ds_write_b128 v92, v[40:43] offset:320
	ds_write_b128 v92, v[36:39] offset:400
	ds_write_b128 v92, v[32:35] offset:480
	ds_write_b128 v92, v[28:31] offset:560
	ds_write_b128 v92, v[24:27] offset:640
	ds_write_b128 v92, v[20:23] offset:720
.LBB0_9:
	s_or_b64 exec, exec, s[0:1]
	s_waitcnt lgkmcnt(0)
	s_barrier
	ds_read_b128 v[20:23], v129 offset:8000
	ds_read_b128 v[24:27], v129 offset:12000
	;; [unrolled: 1-line block ×4, first 2 shown]
	s_mov_b32 s0, 0x134454ff
	s_waitcnt lgkmcnt(3)
	v_mul_f64 v[36:37], v[66:67], v[22:23]
	s_waitcnt lgkmcnt(2)
	v_mul_f64 v[38:39], v[62:63], v[26:27]
	;; [unrolled: 2-line block ×3, first 2 shown]
	v_mul_f64 v[42:43], v[70:71], v[28:29]
	s_mov_b32 s1, 0xbfee6f0e
	s_mov_b32 s2, 0x4755a5e
	;; [unrolled: 1-line block ×4, first 2 shown]
	v_fma_f64 v[46:47], v[64:65], v[20:21], v[36:37]
	v_fma_f64 v[48:49], v[60:61], v[24:25], v[38:39]
	ds_read_b128 v[36:39], v129
	s_waitcnt lgkmcnt(1)
	v_mul_f64 v[44:45], v[58:59], v[32:33]
	v_mul_f64 v[20:21], v[66:67], v[20:21]
	;; [unrolled: 1-line block ×4, first 2 shown]
	v_fma_f64 v[28:29], v[68:69], v[28:29], v[40:41]
	v_fma_f64 v[30:31], v[68:69], v[30:31], -v[42:43]
	v_add_f64 v[40:41], v[46:47], v[48:49]
	s_mov_b32 s9, 0x3fee6f0e
	v_fma_f64 v[34:35], v[56:57], v[34:35], -v[44:45]
	v_fma_f64 v[22:23], v[64:65], v[22:23], -v[20:21]
	;; [unrolled: 1-line block ×3, first 2 shown]
	v_fma_f64 v[32:33], v[56:57], v[32:33], v[50:51]
	s_waitcnt lgkmcnt(0)
	v_add_f64 v[20:21], v[36:37], v[28:29]
	v_add_f64 v[44:45], v[28:29], -v[46:47]
	v_fma_f64 v[24:25], v[40:41], -0.5, v[36:37]
	s_mov_b32 s8, s0
	v_add_f64 v[42:43], v[30:31], -v[34:35]
	s_mov_b32 s5, 0x3fd3c6ef
	v_add_f64 v[40:41], v[22:23], -v[26:27]
	v_add_f64 v[50:51], v[32:33], -v[48:49]
	v_add_f64 v[52:53], v[28:29], v[32:33]
	v_add_f64 v[20:21], v[20:21], v[46:47]
	v_add_f64 v[62:63], v[38:39], v[30:31]
	v_add_f64 v[60:61], v[48:49], -v[32:33]
	v_fma_f64 v[54:55], v[42:43], s[0:1], v[24:25]
	v_fma_f64 v[56:57], v[42:43], s[8:9], v[24:25]
	s_mov_b32 s7, 0x3fe2cf23
	v_add_f64 v[44:45], v[44:45], v[50:51]
	v_fma_f64 v[36:37], v[52:53], -0.5, v[36:37]
	v_add_f64 v[52:53], v[22:23], v[26:27]
	v_add_f64 v[20:21], v[20:21], v[48:49]
	s_mov_b32 s6, s2
	v_fma_f64 v[50:51], v[40:41], s[2:3], v[54:55]
	v_add_f64 v[54:55], v[30:31], v[34:35]
	s_barrier
	v_fma_f64 v[58:59], v[40:41], s[8:9], v[36:37]
	v_fma_f64 v[52:53], v[52:53], -0.5, v[38:39]
	v_add_f64 v[20:21], v[20:21], v[32:33]
	v_fma_f64 v[36:37], v[40:41], s[0:1], v[36:37]
	v_fma_f64 v[24:25], v[44:45], s[4:5], v[50:51]
	v_add_f64 v[50:51], v[46:47], -v[28:29]
	v_add_f64 v[28:29], v[28:29], -v[32:33]
	;; [unrolled: 1-line block ×3, first 2 shown]
	v_fma_f64 v[38:39], v[54:55], -0.5, v[38:39]
	v_fma_f64 v[32:33], v[40:41], s[6:7], v[56:57]
	v_add_f64 v[40:41], v[62:63], v[22:23]
	v_fma_f64 v[48:49], v[42:43], s[2:3], v[58:59]
	v_add_f64 v[56:57], v[30:31], -v[22:23]
	v_add_f64 v[58:59], v[34:35], -v[26:27]
	v_fma_f64 v[54:55], v[28:29], s[8:9], v[52:53]
	v_add_f64 v[50:51], v[50:51], v[60:61]
	v_fma_f64 v[60:61], v[46:47], s[0:1], v[38:39]
	v_add_f64 v[22:23], v[22:23], -v[30:31]
	v_add_f64 v[30:31], v[26:27], -v[34:35]
	v_fma_f64 v[38:39], v[46:47], s[8:9], v[38:39]
	v_fma_f64 v[52:53], v[28:29], s[0:1], v[52:53]
	v_add_f64 v[26:27], v[40:41], v[26:27]
	v_fma_f64 v[36:37], v[42:43], s[6:7], v[36:37]
	v_fma_f64 v[40:41], v[46:47], s[6:7], v[54:55]
	v_add_f64 v[42:43], v[56:57], v[58:59]
	v_fma_f64 v[54:55], v[28:29], s[6:7], v[60:61]
	v_add_f64 v[30:31], v[22:23], v[30:31]
	v_fma_f64 v[38:39], v[28:29], s[2:3], v[38:39]
	v_fma_f64 v[46:47], v[46:47], s[2:3], v[52:53]
	v_add_f64 v[22:23], v[26:27], v[34:35]
	v_fma_f64 v[28:29], v[44:45], s[4:5], v[32:33]
	v_fma_f64 v[32:33], v[50:51], s[4:5], v[48:49]
	;; [unrolled: 1-line block ×7, first 2 shown]
	ds_write_b128 v134, v[20:23]
	ds_write_b128 v134, v[24:27] offset:800
	ds_write_b128 v134, v[32:35] offset:1600
	;; [unrolled: 1-line block ×4, first 2 shown]
	s_waitcnt lgkmcnt(0)
	s_barrier
	ds_read_b128 v[20:23], v129 offset:8000
	ds_read_b128 v[24:27], v129 offset:12000
	;; [unrolled: 1-line block ×4, first 2 shown]
	s_waitcnt lgkmcnt(3)
	v_mul_f64 v[36:37], v[82:83], v[22:23]
	s_waitcnt lgkmcnt(2)
	v_mul_f64 v[38:39], v[78:79], v[26:27]
	;; [unrolled: 2-line block ×3, first 2 shown]
	v_mul_f64 v[40:41], v[86:87], v[30:31]
	v_fma_f64 v[44:45], v[80:81], v[20:21], v[36:37]
	v_fma_f64 v[46:47], v[76:77], v[24:25], v[38:39]
	ds_read_b128 v[36:39], v129
	s_waitcnt lgkmcnt(1)
	v_mul_f64 v[48:49], v[74:75], v[32:33]
	v_fma_f64 v[30:31], v[84:85], v[30:31], -v[42:43]
	v_fma_f64 v[28:29], v[84:85], v[28:29], v[40:41]
	v_mul_f64 v[20:21], v[82:83], v[20:21]
	v_mul_f64 v[24:25], v[78:79], v[24:25]
	v_add_f64 v[40:41], v[44:45], v[46:47]
	v_fma_f64 v[42:43], v[72:73], v[34:35], -v[48:49]
	v_mul_f64 v[34:35], v[74:75], v[34:35]
	v_add_f64 v[50:51], v[28:29], -v[44:45]
	v_fma_f64 v[22:23], v[80:81], v[22:23], -v[20:21]
	s_waitcnt lgkmcnt(0)
	v_add_f64 v[20:21], v[36:37], v[28:29]
	v_fma_f64 v[26:27], v[76:77], v[26:27], -v[24:25]
	v_fma_f64 v[40:41], v[40:41], -0.5, v[36:37]
	v_add_f64 v[62:63], v[38:39], v[30:31]
	v_add_f64 v[48:49], v[30:31], -v[42:43]
	v_fma_f64 v[32:33], v[72:73], v[32:33], v[34:35]
	v_add_f64 v[56:57], v[30:31], v[42:43]
	v_add_f64 v[58:59], v[44:45], -v[28:29]
	v_add_f64 v[20:21], v[20:21], v[44:45]
	v_add_f64 v[34:35], v[22:23], -v[26:27]
	v_fma_f64 v[24:25], v[48:49], s[0:1], v[40:41]
	v_add_f64 v[52:53], v[32:33], -v[46:47]
	v_add_f64 v[54:55], v[28:29], v[32:33]
	v_fma_f64 v[40:41], v[48:49], s[8:9], v[40:41]
	v_add_f64 v[20:21], v[20:21], v[46:47]
	v_add_f64 v[60:61], v[46:47], -v[32:33]
	v_add_f64 v[28:29], v[28:29], -v[32:33]
	v_fma_f64 v[24:25], v[34:35], s[2:3], v[24:25]
	v_add_f64 v[50:51], v[50:51], v[52:53]
	v_fma_f64 v[36:37], v[54:55], -0.5, v[36:37]
	v_add_f64 v[52:53], v[22:23], v[26:27]
	v_add_f64 v[20:21], v[20:21], v[32:33]
	v_fma_f64 v[32:33], v[34:35], s[6:7], v[40:41]
	v_add_f64 v[40:41], v[44:45], -v[46:47]
	v_add_f64 v[46:47], v[58:59], v[60:61]
	v_add_f64 v[58:59], v[42:43], -v[26:27]
	v_fma_f64 v[24:25], v[50:51], s[4:5], v[24:25]
	v_fma_f64 v[54:55], v[34:35], s[8:9], v[36:37]
	v_fma_f64 v[52:53], v[52:53], -0.5, v[38:39]
	v_fma_f64 v[38:39], v[56:57], -0.5, v[38:39]
	v_fma_f64 v[34:35], v[34:35], s[0:1], v[36:37]
	v_add_f64 v[36:37], v[62:63], v[22:23]
	v_add_f64 v[56:57], v[30:31], -v[22:23]
	v_add_f64 v[22:23], v[22:23], -v[30:31]
	v_add_f64 v[30:31], v[26:27], -v[42:43]
	v_fma_f64 v[44:45], v[48:49], s[2:3], v[54:55]
	v_fma_f64 v[54:55], v[28:29], s[8:9], v[52:53]
	;; [unrolled: 1-line block ×5, first 2 shown]
	v_add_f64 v[26:27], v[36:37], v[26:27]
	v_fma_f64 v[34:35], v[48:49], s[6:7], v[34:35]
	v_add_f64 v[30:31], v[22:23], v[30:31]
	v_fma_f64 v[48:49], v[40:41], s[6:7], v[54:55]
	;; [unrolled: 2-line block ×3, first 2 shown]
	v_fma_f64 v[38:39], v[28:29], s[2:3], v[38:39]
	v_fma_f64 v[40:41], v[40:41], s[2:3], v[52:53]
	v_add_f64 v[22:23], v[26:27], v[42:43]
	v_fma_f64 v[28:29], v[50:51], s[4:5], v[32:33]
	v_fma_f64 v[32:33], v[46:47], s[4:5], v[44:45]
	;; [unrolled: 1-line block ×7, first 2 shown]
	ds_write_b128 v129, v[20:23]
	ds_write_b128 v129, v[24:27] offset:4000
	ds_write_b128 v129, v[32:35] offset:8000
	ds_write_b128 v129, v[36:39] offset:12000
	ds_write_b128 v129, v[28:31] offset:16000
	s_waitcnt lgkmcnt(0)
	s_barrier
	ds_read_b128 v[20:23], v129
	ds_read_b128 v[24:27], v129 offset:4000
	v_mad_u64_u32 v[28:29], s[0:1], s14, v128, 0
	s_mul_i32 s2, s13, 0xfa0
	s_waitcnt lgkmcnt(1)
	v_mul_f64 v[30:31], v[18:19], v[22:23]
	v_mul_f64 v[18:19], v[18:19], v[20:21]
	s_mul_hi_u32 s3, s12, 0xfa0
	s_add_i32 s2, s3, s2
	s_mul_i32 s3, s12, 0xfa0
	v_mad_u64_u32 v[32:33], s[0:1], s15, v128, v[29:30]
	v_mad_u64_u32 v[33:34], s[0:1], s12, v130, 0
	v_fma_f64 v[20:21], v[16:17], v[20:21], v[30:31]
	v_fma_f64 v[18:19], v[16:17], v[22:23], -v[18:19]
	v_mov_b32_e32 v16, v34
	v_mad_u64_u32 v[22:23], s[0:1], s13, v130, v[16:17]
	s_mov_b32 s0, 0xeb1c432d
	s_mov_b32 s1, 0x3f4a36e2
	v_mov_b32_e32 v34, v22
	s_waitcnt lgkmcnt(0)
	v_mul_f64 v[22:23], v[10:11], v[26:27]
	v_mul_f64 v[10:11], v[10:11], v[24:25]
	v_mov_b32_e32 v29, v32
	v_mul_f64 v[16:17], v[20:21], s[0:1]
	v_mul_f64 v[18:19], v[18:19], s[0:1]
	v_lshlrev_b64 v[20:21], 4, v[28:29]
	v_mov_b32_e32 v28, s17
	v_add_co_u32_e32 v29, vcc, s16, v20
	v_fma_f64 v[22:23], v[8:9], v[24:25], v[22:23]
	v_fma_f64 v[24:25], v[8:9], v[26:27], -v[10:11]
	ds_read_b128 v[8:11], v129 offset:8000
	v_addc_co_u32_e32 v28, vcc, v28, v21, vcc
	v_lshlrev_b64 v[20:21], 4, v[33:34]
	v_add_co_u32_e32 v26, vcc, v29, v20
	v_addc_co_u32_e32 v27, vcc, v28, v21, vcc
	global_store_dwordx4 v[26:27], v[16:19], off
	s_nop 0
	v_mul_f64 v[16:17], v[22:23], s[0:1]
	ds_read_b128 v[20:23], v129 offset:12000
	s_waitcnt lgkmcnt(1)
	v_mul_f64 v[28:29], v[6:7], v[10:11]
	v_mul_f64 v[6:7], v[6:7], v[8:9]
	;; [unrolled: 1-line block ×3, first 2 shown]
	v_mov_b32_e32 v25, s2
	v_add_co_u32_e32 v24, vcc, s3, v26
	v_addc_co_u32_e32 v25, vcc, v27, v25, vcc
	v_fma_f64 v[8:9], v[4:5], v[8:9], v[28:29]
	v_fma_f64 v[10:11], v[4:5], v[10:11], -v[6:7]
	ds_read_b128 v[4:7], v129 offset:16000
	s_waitcnt lgkmcnt(1)
	v_mul_f64 v[26:27], v[2:3], v[22:23]
	v_mul_f64 v[2:3], v[2:3], v[20:21]
	global_store_dwordx4 v[24:25], v[16:19], off
	s_waitcnt lgkmcnt(0)
	v_mul_f64 v[28:29], v[14:15], v[6:7]
	v_mul_f64 v[14:15], v[14:15], v[4:5]
	;; [unrolled: 1-line block ×4, first 2 shown]
	v_fma_f64 v[16:17], v[0:1], v[20:21], v[26:27]
	v_fma_f64 v[2:3], v[0:1], v[22:23], -v[2:3]
	v_mov_b32_e32 v18, s2
	v_fma_f64 v[4:5], v[12:13], v[4:5], v[28:29]
	v_fma_f64 v[6:7], v[12:13], v[6:7], -v[14:15]
	v_add_co_u32_e32 v12, vcc, s3, v24
	v_mul_f64 v[0:1], v[16:17], s[0:1]
	v_mul_f64 v[2:3], v[2:3], s[0:1]
	v_addc_co_u32_e32 v13, vcc, v25, v18, vcc
	v_mul_f64 v[4:5], v[4:5], s[0:1]
	v_mul_f64 v[6:7], v[6:7], s[0:1]
	global_store_dwordx4 v[12:13], v[8:11], off
	s_nop 0
	v_mov_b32_e32 v9, s2
	v_add_co_u32_e32 v8, vcc, s3, v12
	v_addc_co_u32_e32 v9, vcc, v13, v9, vcc
	global_store_dwordx4 v[8:9], v[0:3], off
	s_nop 0
	v_mov_b32_e32 v1, s2
	v_add_co_u32_e32 v0, vcc, s3, v8
	v_addc_co_u32_e32 v1, vcc, v9, v1, vcc
	global_store_dwordx4 v[0:1], v[4:7], off
.LBB0_10:
	s_endpgm
	.section	.rodata,"a",@progbits
	.p2align	6, 0x0
	.amdhsa_kernel bluestein_single_fwd_len1250_dim1_dp_op_CI_CI
		.amdhsa_group_segment_fixed_size 20000
		.amdhsa_private_segment_fixed_size 0
		.amdhsa_kernarg_size 104
		.amdhsa_user_sgpr_count 6
		.amdhsa_user_sgpr_private_segment_buffer 1
		.amdhsa_user_sgpr_dispatch_ptr 0
		.amdhsa_user_sgpr_queue_ptr 0
		.amdhsa_user_sgpr_kernarg_segment_ptr 1
		.amdhsa_user_sgpr_dispatch_id 0
		.amdhsa_user_sgpr_flat_scratch_init 0
		.amdhsa_user_sgpr_private_segment_size 0
		.amdhsa_uses_dynamic_stack 0
		.amdhsa_system_sgpr_private_segment_wavefront_offset 0
		.amdhsa_system_sgpr_workgroup_id_x 1
		.amdhsa_system_sgpr_workgroup_id_y 0
		.amdhsa_system_sgpr_workgroup_id_z 0
		.amdhsa_system_sgpr_workgroup_info 0
		.amdhsa_system_vgpr_workitem_id 0
		.amdhsa_next_free_vgpr 179
		.amdhsa_next_free_sgpr 28
		.amdhsa_reserve_vcc 1
		.amdhsa_reserve_flat_scratch 0
		.amdhsa_float_round_mode_32 0
		.amdhsa_float_round_mode_16_64 0
		.amdhsa_float_denorm_mode_32 3
		.amdhsa_float_denorm_mode_16_64 3
		.amdhsa_dx10_clamp 1
		.amdhsa_ieee_mode 1
		.amdhsa_fp16_overflow 0
		.amdhsa_exception_fp_ieee_invalid_op 0
		.amdhsa_exception_fp_denorm_src 0
		.amdhsa_exception_fp_ieee_div_zero 0
		.amdhsa_exception_fp_ieee_overflow 0
		.amdhsa_exception_fp_ieee_underflow 0
		.amdhsa_exception_fp_ieee_inexact 0
		.amdhsa_exception_int_div_zero 0
	.end_amdhsa_kernel
	.text
.Lfunc_end0:
	.size	bluestein_single_fwd_len1250_dim1_dp_op_CI_CI, .Lfunc_end0-bluestein_single_fwd_len1250_dim1_dp_op_CI_CI
                                        ; -- End function
	.section	.AMDGPU.csdata,"",@progbits
; Kernel info:
; codeLenInByte = 9348
; NumSgprs: 32
; NumVgprs: 179
; ScratchSize: 0
; MemoryBound: 0
; FloatMode: 240
; IeeeMode: 1
; LDSByteSize: 20000 bytes/workgroup (compile time only)
; SGPRBlocks: 3
; VGPRBlocks: 44
; NumSGPRsForWavesPerEU: 32
; NumVGPRsForWavesPerEU: 179
; Occupancy: 1
; WaveLimiterHint : 1
; COMPUTE_PGM_RSRC2:SCRATCH_EN: 0
; COMPUTE_PGM_RSRC2:USER_SGPR: 6
; COMPUTE_PGM_RSRC2:TRAP_HANDLER: 0
; COMPUTE_PGM_RSRC2:TGID_X_EN: 1
; COMPUTE_PGM_RSRC2:TGID_Y_EN: 0
; COMPUTE_PGM_RSRC2:TGID_Z_EN: 0
; COMPUTE_PGM_RSRC2:TIDIG_COMP_CNT: 0
	.type	__hip_cuid_2f1da617b5b4973c,@object ; @__hip_cuid_2f1da617b5b4973c
	.section	.bss,"aw",@nobits
	.globl	__hip_cuid_2f1da617b5b4973c
__hip_cuid_2f1da617b5b4973c:
	.byte	0                               ; 0x0
	.size	__hip_cuid_2f1da617b5b4973c, 1

	.ident	"AMD clang version 19.0.0git (https://github.com/RadeonOpenCompute/llvm-project roc-6.4.0 25133 c7fe45cf4b819c5991fe208aaa96edf142730f1d)"
	.section	".note.GNU-stack","",@progbits
	.addrsig
	.addrsig_sym __hip_cuid_2f1da617b5b4973c
	.amdgpu_metadata
---
amdhsa.kernels:
  - .args:
      - .actual_access:  read_only
        .address_space:  global
        .offset:         0
        .size:           8
        .value_kind:     global_buffer
      - .actual_access:  read_only
        .address_space:  global
        .offset:         8
        .size:           8
        .value_kind:     global_buffer
      - .actual_access:  read_only
        .address_space:  global
        .offset:         16
        .size:           8
        .value_kind:     global_buffer
      - .actual_access:  read_only
        .address_space:  global
        .offset:         24
        .size:           8
        .value_kind:     global_buffer
      - .actual_access:  read_only
        .address_space:  global
        .offset:         32
        .size:           8
        .value_kind:     global_buffer
      - .offset:         40
        .size:           8
        .value_kind:     by_value
      - .address_space:  global
        .offset:         48
        .size:           8
        .value_kind:     global_buffer
      - .address_space:  global
        .offset:         56
        .size:           8
        .value_kind:     global_buffer
      - .address_space:  global
        .offset:         64
        .size:           8
        .value_kind:     global_buffer
      - .address_space:  global
        .offset:         72
        .size:           8
        .value_kind:     global_buffer
      - .offset:         80
        .size:           4
        .value_kind:     by_value
      - .address_space:  global
        .offset:         88
        .size:           8
        .value_kind:     global_buffer
      - .address_space:  global
        .offset:         96
        .size:           8
        .value_kind:     global_buffer
    .group_segment_fixed_size: 20000
    .kernarg_segment_align: 8
    .kernarg_segment_size: 104
    .language:       OpenCL C
    .language_version:
      - 2
      - 0
    .max_flat_workgroup_size: 250
    .name:           bluestein_single_fwd_len1250_dim1_dp_op_CI_CI
    .private_segment_fixed_size: 0
    .sgpr_count:     32
    .sgpr_spill_count: 0
    .symbol:         bluestein_single_fwd_len1250_dim1_dp_op_CI_CI.kd
    .uniform_work_group_size: 1
    .uses_dynamic_stack: false
    .vgpr_count:     179
    .vgpr_spill_count: 0
    .wavefront_size: 64
amdhsa.target:   amdgcn-amd-amdhsa--gfx906
amdhsa.version:
  - 1
  - 2
...

	.end_amdgpu_metadata
